;; amdgpu-corpus repo=ROCm/rocFFT kind=compiled arch=gfx1100 opt=O3
	.text
	.amdgcn_target "amdgcn-amd-amdhsa--gfx1100"
	.amdhsa_code_object_version 6
	.protected	fft_rtc_back_len216_factors_6_4_3_3_wgs_252_tpt_18_dim2_sp_ip_CI_sbcc_twdbase8_2step_dirReg ; -- Begin function fft_rtc_back_len216_factors_6_4_3_3_wgs_252_tpt_18_dim2_sp_ip_CI_sbcc_twdbase8_2step_dirReg
	.globl	fft_rtc_back_len216_factors_6_4_3_3_wgs_252_tpt_18_dim2_sp_ip_CI_sbcc_twdbase8_2step_dirReg
	.p2align	8
	.type	fft_rtc_back_len216_factors_6_4_3_3_wgs_252_tpt_18_dim2_sp_ip_CI_sbcc_twdbase8_2step_dirReg,@function
fft_rtc_back_len216_factors_6_4_3_3_wgs_252_tpt_18_dim2_sp_ip_CI_sbcc_twdbase8_2step_dirReg: ; @fft_rtc_back_len216_factors_6_4_3_3_wgs_252_tpt_18_dim2_sp_ip_CI_sbcc_twdbase8_2step_dirReg
; %bb.0:
	s_load_b128 s[4:7], s[0:1], 0x10
	s_mov_b32 s14, s15
	s_mov_b64 s[18:19], 0
	s_waitcnt lgkmcnt(0)
	s_load_b64 s[12:13], s[4:5], 0x8
	s_waitcnt lgkmcnt(0)
	s_add_u32 s2, s12, -1
	s_addc_u32 s3, s13, -1
	s_add_u32 s4, 0, 0x49240800
	s_addc_u32 s5, 0, 50
	s_mul_hi_u32 s9, s4, -14
	s_add_i32 s5, s5, 0x12492460
	s_sub_i32 s9, s9, s4
	s_mul_i32 s11, s5, -14
	s_mul_i32 s8, s4, -14
	s_add_i32 s9, s9, s11
	s_mul_hi_u32 s10, s4, s8
	s_mul_i32 s16, s4, s9
	s_mul_hi_u32 s11, s4, s9
	s_mul_hi_u32 s15, s5, s8
	s_mul_i32 s8, s5, s8
	s_add_u32 s10, s10, s16
	s_addc_u32 s11, 0, s11
	s_mul_hi_u32 s17, s5, s9
	s_add_u32 s8, s10, s8
	s_mul_i32 s9, s5, s9
	s_addc_u32 s8, s11, s15
	s_addc_u32 s10, s17, 0
	s_add_u32 s8, s8, s9
	s_delay_alu instid0(SALU_CYCLE_1) | instskip(SKIP_3) | instid1(VALU_DEP_1)
	v_add_co_u32 v1, s4, s4, s8
	s_addc_u32 s8, 0, s10
	s_cmp_lg_u32 s4, 0
	s_addc_u32 s4, s5, s8
	v_readfirstlane_b32 s5, v1
	s_mul_i32 s9, s2, s4
	s_mul_hi_u32 s8, s2, s4
	s_mul_hi_u32 s10, s3, s4
	s_mul_i32 s4, s3, s4
	s_mul_hi_u32 s11, s2, s5
	s_mul_hi_u32 s15, s3, s5
	s_mul_i32 s5, s3, s5
	s_add_u32 s9, s11, s9
	s_addc_u32 s8, 0, s8
	s_add_u32 s5, s9, s5
	s_addc_u32 s5, s8, s15
	s_addc_u32 s8, s10, 0
	s_add_u32 s4, s5, s4
	s_addc_u32 s5, 0, s8
	s_mul_i32 s9, s4, 14
	s_add_u32 s8, s4, 1
	v_sub_co_u32 v1, s2, s2, s9
	s_mul_hi_u32 s9, s4, 14
	s_addc_u32 s10, s5, 0
	s_mul_i32 s11, s5, 14
	s_delay_alu instid0(VALU_DEP_1)
	v_sub_co_u32 v2, s15, v1, 14
	s_add_u32 s16, s4, 2
	s_addc_u32 s17, s5, 0
	s_add_i32 s9, s9, s11
	s_cmp_lg_u32 s2, 0
	v_readfirstlane_b32 s2, v2
	s_subb_u32 s3, s3, s9
	s_cmp_lg_u32 s15, 0
	s_subb_u32 s9, s3, 0
	s_delay_alu instid0(VALU_DEP_1) | instskip(SKIP_4) | instid1(SALU_CYCLE_1)
	s_cmp_gt_u32 s2, 13
	s_cselect_b32 s2, -1, 0
	s_cmp_eq_u32 s9, 0
	v_readfirstlane_b32 s9, v1
	s_cselect_b32 s2, s2, -1
	s_cmp_lg_u32 s2, 0
	s_cselect_b32 s11, s16, s8
	s_cselect_b32 s10, s17, s10
	s_cmp_gt_u32 s9, 13
	s_load_b64 s[8:9], s[0:1], 0x50
	s_cselect_b32 s15, -1, 0
	s_cmp_eq_u32 s3, 0
	s_load_b64 s[2:3], s[6:7], 0x0
	s_cselect_b32 s15, s15, -1
	s_delay_alu instid0(SALU_CYCLE_1)
	s_cmp_lg_u32 s15, 0
	s_mov_b32 s15, 0
	s_cselect_b32 s4, s11, s4
	s_cselect_b32 s5, s10, s5
	s_add_u32 s16, s4, 1
	s_addc_u32 s17, s5, 0
	s_delay_alu instid0(SALU_CYCLE_1) | instskip(SKIP_1) | instid1(VALU_DEP_1)
	v_cmp_lt_u64_e64 s4, s[14:15], s[16:17]
	s_mov_b32 s15, -1
	s_and_b32 vcc_lo, exec_lo, s4
	s_cbranch_vccnz .LBB0_2
; %bb.1:
	v_cvt_f32_u32_e32 v1, s16
	s_sub_i32 s5, 0, s16
	s_delay_alu instid0(VALU_DEP_1) | instskip(SKIP_2) | instid1(VALU_DEP_1)
	v_rcp_iflag_f32_e32 v1, v1
	s_waitcnt_depctr 0xfff
	v_mul_f32_e32 v1, 0x4f7ffffe, v1
	v_cvt_u32_f32_e32 v1, v1
	s_delay_alu instid0(VALU_DEP_1) | instskip(NEXT) | instid1(VALU_DEP_1)
	v_readfirstlane_b32 s4, v1
	s_mul_i32 s5, s5, s4
	s_delay_alu instid0(SALU_CYCLE_1) | instskip(NEXT) | instid1(SALU_CYCLE_1)
	s_mul_hi_u32 s5, s4, s5
	s_add_i32 s4, s4, s5
	s_delay_alu instid0(SALU_CYCLE_1) | instskip(NEXT) | instid1(SALU_CYCLE_1)
	s_mul_hi_u32 s4, s14, s4
	s_mul_i32 s5, s4, s16
	s_add_i32 s10, s4, 1
	s_sub_i32 s5, s14, s5
	s_delay_alu instid0(SALU_CYCLE_1)
	s_sub_i32 s11, s5, s16
	s_cmp_ge_u32 s5, s16
	s_cselect_b32 s4, s10, s4
	s_cselect_b32 s5, s11, s5
	s_add_i32 s10, s4, 1
	s_cmp_ge_u32 s5, s16
	s_cselect_b32 s18, s10, s4
.LBB0_2:
	s_load_b128 s[4:7], s[6:7], 0x8
	v_mul_u32_u24_e32 v1, 0x124a, v0
	s_mul_i32 s17, s18, s17
	s_mul_hi_u32 s19, s18, s16
	s_mul_i32 s16, s18, s16
	s_add_i32 s19, s19, s17
	v_lshrrev_b32_e32 v31, 16, v1
	s_sub_u32 s14, s14, s16
	s_subb_u32 s16, 0, s19
	s_load_b64 s[10:11], s[0:1], 0x0
	s_mul_hi_u32 s17, s14, 14
	v_mul_lo_u16 v1, v31, 14
	s_mul_i32 s16, s16, 14
	s_mul_i32 s14, s14, 14
	s_add_i32 s19, s17, s16
	s_delay_alu instid0(VALU_DEP_1)
	v_sub_nc_u16 v1, v0, v1
	s_waitcnt lgkmcnt(0)
	s_mul_i32 s17, s14, s5
	s_mul_hi_u32 s20, s14, s4
	s_mul_i32 s16, s19, s4
	s_mul_i32 s7, s7, s18
	s_mul_hi_u32 s22, s6, s18
	s_add_i32 s17, s20, s17
	s_mul_i32 s21, s14, s4
	s_mul_i32 s6, s6, s18
	s_add_i32 s17, s17, s16
	s_add_i32 s22, s22, s7
	s_add_u32 s6, s6, s21
	v_and_b32_e32 v28, 0xffff, v1
	s_addc_u32 s7, s22, s17
	s_add_u32 s16, s14, 14
	s_addc_u32 s17, s19, 0
	s_delay_alu instid0(SALU_CYCLE_1) | instskip(SKIP_1) | instid1(VALU_DEP_1)
	v_cmp_gt_u64_e64 s18, s[16:17], s[12:13]
	v_add_co_u32 v1, s14, s14, v28
	v_add_co_ci_u32_e64 v2, null, s19, 0, s14
	v_cmp_le_u64_e64 s14, s[16:17], s[12:13]
	s_delay_alu instid0(VALU_DEP_4)
	s_and_b32 vcc_lo, exec_lo, s18
	s_cbranch_vccz .LBB0_8
; %bb.3:
	s_mov_b32 s15, exec_lo
                                        ; implicit-def: $vgpr30
                                        ; implicit-def: $vgpr29
                                        ; implicit-def: $vgpr27
	v_cmpx_le_u64_e64 s[12:13], v[1:2]
	s_xor_b32 s15, exec_lo, s15
; %bb.4:
	v_add_nc_u32_e32 v30, 18, v31
	v_add_nc_u32_e32 v29, 54, v31
	;; [unrolled: 1-line block ×3, first 2 shown]
; %bb.5:
	s_or_saveexec_b32 s15, s15
                                        ; implicit-def: $vgpr7
                                        ; implicit-def: $vgpr13
                                        ; implicit-def: $vgpr15
                                        ; implicit-def: $vgpr19
                                        ; implicit-def: $vgpr17
                                        ; implicit-def: $vgpr21
                                        ; implicit-def: $vgpr9
                                        ; implicit-def: $vgpr23
                                        ; implicit-def: $vgpr25
                                        ; implicit-def: $vgpr11
                                        ; implicit-def: $vgpr5
                                        ; implicit-def: $vgpr3
	s_delay_alu instid0(SALU_CYCLE_1)
	s_xor_b32 exec_lo, exec_lo, s15
	s_cbranch_execz .LBB0_7
; %bb.6:
	v_mad_u64_u32 v[3:4], null, s4, v28, 0
	v_mad_u64_u32 v[5:6], null, s2, v31, 0
	s_lshl_b64 s[16:17], s[6:7], 3
	v_add_nc_u32_e32 v18, 0x90, v31
	s_add_u32 s16, s8, s16
	s_addc_u32 s17, s9, s17
	v_add_nc_u32_e32 v30, 18, v31
	v_add_nc_u32_e32 v38, 0xc6, v31
	s_delay_alu instid0(VALU_DEP_4) | instskip(SKIP_1) | instid1(VALU_DEP_4)
	v_mad_u64_u32 v[7:8], null, s5, v28, v[4:5]
	v_add_nc_u32_e32 v27, 36, v31
	v_mad_u64_u32 v[20:21], null, s2, v30, 0
	v_add_nc_u32_e32 v24, 0xb4, v31
	v_add_nc_u32_e32 v29, 54, v31
	;; [unrolled: 1-line block ×3, first 2 shown]
	v_mad_u64_u32 v[8:9], null, s3, v31, v[6:7]
	v_dual_mov_b32 v4, v7 :: v_dual_add_nc_u32 v15, 0x48, v31
	v_mad_u64_u32 v[9:10], null, s2, v27, 0
	v_add_nc_u32_e32 v16, 0x6c, v31
	s_delay_alu instid0(VALU_DEP_4) | instskip(NEXT) | instid1(VALU_DEP_4)
	v_mov_b32_e32 v6, v8
	v_mad_u64_u32 v[11:12], null, s2, v15, 0
	v_lshlrev_b64 v[3:4], 3, v[3:4]
	v_mov_b32_e32 v7, v10
	s_delay_alu instid0(VALU_DEP_4) | instskip(NEXT) | instid1(VALU_DEP_4)
	v_lshlrev_b64 v[5:6], 3, v[5:6]
	v_mov_b32_e32 v8, v12
	s_delay_alu instid0(VALU_DEP_4) | instskip(SKIP_1) | instid1(VALU_DEP_3)
	v_add_co_u32 v40, vcc_lo, s16, v3
	v_add_co_ci_u32_e32 v41, vcc_lo, s17, v4, vcc_lo
	v_mad_u64_u32 v[12:13], null, s3, v27, v[7:8]
	v_mad_u64_u32 v[13:14], null, s3, v15, v[8:9]
	;; [unrolled: 1-line block ×3, first 2 shown]
	v_add_co_u32 v3, vcc_lo, v40, v5
	s_delay_alu instid0(VALU_DEP_4) | instskip(SKIP_1) | instid1(VALU_DEP_4)
	v_mov_b32_e32 v10, v12
	v_add_co_ci_u32_e32 v4, vcc_lo, v41, v6, vcc_lo
	v_dual_mov_b32 v12, v13 :: v_dual_mov_b32 v5, v8
	s_delay_alu instid0(VALU_DEP_3) | instskip(NEXT) | instid1(VALU_DEP_2)
	v_lshlrev_b64 v[8:9], 3, v[9:10]
	v_mad_u64_u32 v[13:14], null, s3, v16, v[5:6]
	s_delay_alu instid0(VALU_DEP_3) | instskip(SKIP_1) | instid1(VALU_DEP_4)
	v_lshlrev_b64 v[5:6], 3, v[11:12]
	v_mad_u64_u32 v[14:15], null, s2, v18, 0
	v_add_co_u32 v10, vcc_lo, v40, v8
	v_add_co_ci_u32_e32 v11, vcc_lo, v41, v9, vcc_lo
	v_mov_b32_e32 v8, v13
	v_add_co_u32 v12, vcc_lo, v40, v5
	v_add_co_ci_u32_e32 v13, vcc_lo, v41, v6, vcc_lo
	s_delay_alu instid0(VALU_DEP_3) | instskip(SKIP_1) | instid1(VALU_DEP_1)
	v_lshlrev_b64 v[6:7], 3, v[7:8]
	v_mov_b32_e32 v5, v15
	v_mad_u64_u32 v[8:9], null, s3, v18, v[5:6]
	v_mov_b32_e32 v9, v21
	v_mad_u64_u32 v[16:17], null, s2, v24, 0
	v_add_co_u32 v18, vcc_lo, v40, v6
	v_add_co_ci_u32_e32 v19, vcc_lo, v41, v7, vcc_lo
	v_mov_b32_e32 v15, v8
	s_delay_alu instid0(VALU_DEP_4) | instskip(NEXT) | instid1(VALU_DEP_1)
	v_mov_b32_e32 v5, v17
	v_mad_u64_u32 v[22:23], null, s3, v24, v[5:6]
	s_clause 0x3
	global_load_b64 v[3:4], v[3:4], off
	global_load_b64 v[5:6], v[10:11], off
	;; [unrolled: 1-line block ×4, first 2 shown]
	v_lshlrev_b64 v[13:14], 3, v[14:15]
	v_mov_b32_e32 v17, v22
	v_mad_u64_u32 v[18:19], null, s3, v30, v[9:10]
	v_mad_u64_u32 v[9:10], null, s2, v29, 0
	s_delay_alu instid0(VALU_DEP_3) | instskip(SKIP_3) | instid1(VALU_DEP_4)
	v_lshlrev_b64 v[15:16], 3, v[16:17]
	v_add_co_u32 v13, vcc_lo, v40, v13
	v_add_co_ci_u32_e32 v14, vcc_lo, v41, v14, vcc_lo
	v_mov_b32_e32 v21, v18
	v_add_co_u32 v15, vcc_lo, v40, v15
	v_add_co_ci_u32_e32 v16, vcc_lo, v41, v16, vcc_lo
	s_delay_alu instid0(VALU_DEP_3) | instskip(SKIP_4) | instid1(VALU_DEP_3)
	v_lshlrev_b64 v[19:20], 3, v[20:21]
	s_waitcnt vmcnt(1)
	v_mad_u64_u32 v[22:23], null, s3, v29, v[10:11]
	v_add_nc_u32_e32 v25, 0x5a, v31
	v_mad_u64_u32 v[23:24], null, s2, v34, 0
	v_dual_mov_b32 v10, v22 :: v_dual_add_nc_u32 v37, 0xa2, v31
	s_delay_alu instid0(VALU_DEP_3) | instskip(NEXT) | instid1(VALU_DEP_2)
	v_mad_u64_u32 v[17:18], null, s2, v25, 0
	v_lshlrev_b64 v[9:10], 3, v[9:10]
	s_delay_alu instid0(VALU_DEP_2) | instskip(SKIP_2) | instid1(VALU_DEP_2)
	v_mad_u64_u32 v[21:22], null, s3, v25, v[18:19]
	v_mov_b32_e32 v18, v24
	v_mad_u64_u32 v[25:26], null, s2, v37, 0
	v_mad_u64_u32 v[32:33], null, s3, v34, v[18:19]
	;; [unrolled: 1-line block ×3, first 2 shown]
	s_delay_alu instid0(VALU_DEP_3)
	v_mov_b32_e32 v22, v26
	v_add_co_u32 v19, vcc_lo, v40, v19
	v_mov_b32_e32 v18, v21
	v_add_co_ci_u32_e32 v20, vcc_lo, v41, v20, vcc_lo
	v_mov_b32_e32 v21, v34
	v_mad_u64_u32 v[35:36], null, s3, v37, v[22:23]
	v_add_co_u32 v36, vcc_lo, v40, v9
	v_mov_b32_e32 v24, v32
	v_add_co_ci_u32_e32 v37, vcc_lo, v41, v10, vcc_lo
	v_lshlrev_b64 v[9:10], 3, v[17:18]
	v_mad_u64_u32 v[17:18], null, s3, v38, v[21:22]
	s_delay_alu instid0(VALU_DEP_4) | instskip(SKIP_1) | instid1(VALU_DEP_4)
	v_lshlrev_b64 v[21:22], 3, v[23:24]
	v_mov_b32_e32 v26, v35
	v_add_co_u32 v38, vcc_lo, v40, v9
	v_add_co_ci_u32_e32 v39, vcc_lo, v41, v10, vcc_lo
	v_mov_b32_e32 v34, v17
	s_delay_alu instid0(VALU_DEP_4) | instskip(SKIP_2) | instid1(VALU_DEP_4)
	v_lshlrev_b64 v[9:10], 3, v[25:26]
	v_add_co_u32 v17, vcc_lo, v40, v21
	v_add_co_ci_u32_e32 v18, vcc_lo, v41, v22, vcc_lo
	v_lshlrev_b64 v[21:22], 3, v[33:34]
	s_delay_alu instid0(VALU_DEP_4) | instskip(SKIP_1) | instid1(VALU_DEP_3)
	v_add_co_u32 v32, vcc_lo, v40, v9
	v_add_co_ci_u32_e32 v33, vcc_lo, v41, v10, vcc_lo
	v_add_co_u32 v34, vcc_lo, v40, v21
	s_delay_alu instid0(VALU_DEP_4)
	v_add_co_ci_u32_e32 v35, vcc_lo, v41, v22, vcc_lo
	s_clause 0x7
	global_load_b64 v[25:26], v[13:14], off
	global_load_b64 v[23:24], v[15:16], off
	;; [unrolled: 1-line block ×8, first 2 shown]
.LBB0_7:
	s_or_b32 exec_lo, exec_lo, s15
	s_cbranch_execz .LBB0_9
	s_branch .LBB0_10
.LBB0_8:
                                        ; implicit-def: $vgpr7
                                        ; implicit-def: $vgpr13
                                        ; implicit-def: $vgpr15
                                        ; implicit-def: $vgpr19
                                        ; implicit-def: $vgpr17
                                        ; implicit-def: $vgpr21
                                        ; implicit-def: $vgpr9
                                        ; implicit-def: $vgpr23
                                        ; implicit-def: $vgpr25
                                        ; implicit-def: $vgpr11
                                        ; implicit-def: $vgpr5
                                        ; implicit-def: $vgpr3
                                        ; implicit-def: $vgpr30
                                        ; implicit-def: $vgpr29
                                        ; implicit-def: $vgpr27
	s_and_not1_b32 vcc_lo, exec_lo, s15
	s_cbranch_vccnz .LBB0_10
.LBB0_9:
	v_mad_u64_u32 v[3:4], null, s4, v28, 0
	v_mad_u64_u32 v[5:6], null, s2, v31, 0
	s_lshl_b64 s[16:17], s[6:7], 3
	s_waitcnt vmcnt(2)
	v_add_nc_u32_e32 v18, 0x90, v31
	s_add_u32 s15, s8, s16
	s_addc_u32 s16, s9, s17
	v_add_nc_u32_e32 v30, 18, v31
	v_add_nc_u32_e32 v38, 0xc6, v31
	v_mad_u64_u32 v[7:8], null, s5, v28, v[4:5]
	v_add_nc_u32_e32 v27, 36, v31
	s_waitcnt vmcnt(1)
	v_mad_u64_u32 v[20:21], null, s2, v30, 0
	v_add_nc_u32_e32 v24, 0xb4, v31
	v_add_nc_u32_e32 v29, 54, v31
	;; [unrolled: 1-line block ×3, first 2 shown]
	v_mad_u64_u32 v[8:9], null, s3, v31, v[6:7]
	s_waitcnt vmcnt(0)
	v_dual_mov_b32 v4, v7 :: v_dual_add_nc_u32 v15, 0x48, v31
	v_mad_u64_u32 v[9:10], null, s2, v27, 0
	v_add_nc_u32_e32 v16, 0x6c, v31
	s_delay_alu instid0(VALU_DEP_4) | instskip(NEXT) | instid1(VALU_DEP_4)
	v_mov_b32_e32 v6, v8
	v_mad_u64_u32 v[11:12], null, s2, v15, 0
	v_lshlrev_b64 v[3:4], 3, v[3:4]
	v_mov_b32_e32 v7, v10
	s_delay_alu instid0(VALU_DEP_4) | instskip(NEXT) | instid1(VALU_DEP_4)
	v_lshlrev_b64 v[5:6], 3, v[5:6]
	v_mov_b32_e32 v8, v12
	s_delay_alu instid0(VALU_DEP_4) | instskip(SKIP_1) | instid1(VALU_DEP_3)
	v_add_co_u32 v40, vcc_lo, s15, v3
	v_add_co_ci_u32_e32 v41, vcc_lo, s16, v4, vcc_lo
	v_mad_u64_u32 v[12:13], null, s3, v27, v[7:8]
	v_mad_u64_u32 v[13:14], null, s3, v15, v[8:9]
	;; [unrolled: 1-line block ×3, first 2 shown]
	v_add_co_u32 v3, vcc_lo, v40, v5
	s_delay_alu instid0(VALU_DEP_4) | instskip(SKIP_1) | instid1(VALU_DEP_4)
	v_mov_b32_e32 v10, v12
	v_add_co_ci_u32_e32 v4, vcc_lo, v41, v6, vcc_lo
	v_dual_mov_b32 v12, v13 :: v_dual_mov_b32 v5, v8
	s_delay_alu instid0(VALU_DEP_3) | instskip(NEXT) | instid1(VALU_DEP_2)
	v_lshlrev_b64 v[8:9], 3, v[9:10]
	v_mad_u64_u32 v[13:14], null, s3, v16, v[5:6]
	s_delay_alu instid0(VALU_DEP_3) | instskip(SKIP_1) | instid1(VALU_DEP_4)
	v_lshlrev_b64 v[5:6], 3, v[11:12]
	v_mad_u64_u32 v[14:15], null, s2, v18, 0
	v_add_co_u32 v10, vcc_lo, v40, v8
	v_add_co_ci_u32_e32 v11, vcc_lo, v41, v9, vcc_lo
	v_mov_b32_e32 v8, v13
	v_add_co_u32 v12, vcc_lo, v40, v5
	v_add_co_ci_u32_e32 v13, vcc_lo, v41, v6, vcc_lo
	s_delay_alu instid0(VALU_DEP_3) | instskip(SKIP_1) | instid1(VALU_DEP_1)
	v_lshlrev_b64 v[6:7], 3, v[7:8]
	v_mov_b32_e32 v5, v15
	v_mad_u64_u32 v[8:9], null, s3, v18, v[5:6]
	v_mov_b32_e32 v9, v21
	v_mad_u64_u32 v[16:17], null, s2, v24, 0
	v_add_co_u32 v18, vcc_lo, v40, v6
	v_add_co_ci_u32_e32 v19, vcc_lo, v41, v7, vcc_lo
	v_mov_b32_e32 v15, v8
	s_delay_alu instid0(VALU_DEP_4) | instskip(NEXT) | instid1(VALU_DEP_1)
	v_mov_b32_e32 v5, v17
	v_mad_u64_u32 v[22:23], null, s3, v24, v[5:6]
	s_clause 0x3
	global_load_b64 v[3:4], v[3:4], off
	global_load_b64 v[5:6], v[10:11], off
	;; [unrolled: 1-line block ×4, first 2 shown]
	v_lshlrev_b64 v[13:14], 3, v[14:15]
	v_mov_b32_e32 v17, v22
	v_mad_u64_u32 v[18:19], null, s3, v30, v[9:10]
	v_mad_u64_u32 v[9:10], null, s2, v29, 0
	s_delay_alu instid0(VALU_DEP_3) | instskip(SKIP_3) | instid1(VALU_DEP_4)
	v_lshlrev_b64 v[15:16], 3, v[16:17]
	v_add_co_u32 v13, vcc_lo, v40, v13
	v_add_co_ci_u32_e32 v14, vcc_lo, v41, v14, vcc_lo
	v_mov_b32_e32 v21, v18
	v_add_co_u32 v15, vcc_lo, v40, v15
	v_add_co_ci_u32_e32 v16, vcc_lo, v41, v16, vcc_lo
	s_delay_alu instid0(VALU_DEP_3) | instskip(SKIP_4) | instid1(VALU_DEP_3)
	v_lshlrev_b64 v[19:20], 3, v[20:21]
	s_waitcnt vmcnt(1)
	v_mad_u64_u32 v[22:23], null, s3, v29, v[10:11]
	v_add_nc_u32_e32 v25, 0x5a, v31
	v_mad_u64_u32 v[23:24], null, s2, v34, 0
	v_dual_mov_b32 v10, v22 :: v_dual_add_nc_u32 v37, 0xa2, v31
	s_delay_alu instid0(VALU_DEP_3) | instskip(NEXT) | instid1(VALU_DEP_2)
	v_mad_u64_u32 v[17:18], null, s2, v25, 0
	v_lshlrev_b64 v[9:10], 3, v[9:10]
	s_delay_alu instid0(VALU_DEP_2) | instskip(SKIP_2) | instid1(VALU_DEP_2)
	v_mad_u64_u32 v[21:22], null, s3, v25, v[18:19]
	v_mov_b32_e32 v18, v24
	v_mad_u64_u32 v[25:26], null, s2, v37, 0
	v_mad_u64_u32 v[32:33], null, s3, v34, v[18:19]
	;; [unrolled: 1-line block ×3, first 2 shown]
	s_delay_alu instid0(VALU_DEP_3)
	v_mov_b32_e32 v22, v26
	v_add_co_u32 v19, vcc_lo, v40, v19
	v_mov_b32_e32 v18, v21
	v_add_co_ci_u32_e32 v20, vcc_lo, v41, v20, vcc_lo
	v_mov_b32_e32 v21, v34
	v_mad_u64_u32 v[35:36], null, s3, v37, v[22:23]
	v_add_co_u32 v36, vcc_lo, v40, v9
	v_mov_b32_e32 v24, v32
	v_add_co_ci_u32_e32 v37, vcc_lo, v41, v10, vcc_lo
	v_lshlrev_b64 v[9:10], 3, v[17:18]
	v_mad_u64_u32 v[17:18], null, s3, v38, v[21:22]
	s_delay_alu instid0(VALU_DEP_4) | instskip(SKIP_1) | instid1(VALU_DEP_4)
	v_lshlrev_b64 v[21:22], 3, v[23:24]
	v_mov_b32_e32 v26, v35
	v_add_co_u32 v38, vcc_lo, v40, v9
	v_add_co_ci_u32_e32 v39, vcc_lo, v41, v10, vcc_lo
	v_mov_b32_e32 v34, v17
	s_delay_alu instid0(VALU_DEP_4) | instskip(SKIP_2) | instid1(VALU_DEP_4)
	v_lshlrev_b64 v[9:10], 3, v[25:26]
	v_add_co_u32 v17, vcc_lo, v40, v21
	v_add_co_ci_u32_e32 v18, vcc_lo, v41, v22, vcc_lo
	v_lshlrev_b64 v[21:22], 3, v[33:34]
	s_delay_alu instid0(VALU_DEP_4) | instskip(SKIP_1) | instid1(VALU_DEP_3)
	v_add_co_u32 v32, vcc_lo, v40, v9
	v_add_co_ci_u32_e32 v33, vcc_lo, v41, v10, vcc_lo
	v_add_co_u32 v34, vcc_lo, v40, v21
	s_delay_alu instid0(VALU_DEP_4)
	v_add_co_ci_u32_e32 v35, vcc_lo, v41, v22, vcc_lo
	s_clause 0x7
	global_load_b64 v[25:26], v[13:14], off
	global_load_b64 v[23:24], v[15:16], off
	;; [unrolled: 1-line block ×8, first 2 shown]
.LBB0_10:
	s_waitcnt vmcnt(7)
	v_dual_add_f32 v32, v11, v25 :: v_dual_add_f32 v35, v12, v26
	v_dual_add_f32 v33, v3, v11 :: v_dual_sub_f32 v34, v12, v26
	v_dual_add_f32 v12, v4, v12 :: v_dual_sub_f32 v11, v11, v25
	s_delay_alu instid0(VALU_DEP_2) | instskip(NEXT) | instid1(VALU_DEP_4)
	v_dual_fmac_f32 v3, -0.5, v32 :: v_dual_add_f32 v32, v33, v25
	v_fmac_f32_e32 v4, -0.5, v35
	v_cmp_gt_u64_e32 vcc_lo, s[12:13], v[1:2]
	s_delay_alu instid0(VALU_DEP_3)
	v_fmamk_f32 v33, v34, 0xbf5db3d7, v3
	v_fmac_f32_e32 v3, 0x3f5db3d7, v34
	s_waitcnt vmcnt(6)
	v_add_f32_e32 v25, v24, v8
	v_dual_add_f32 v12, v12, v26 :: v_dual_fmamk_f32 v35, v11, 0x3f5db3d7, v4
	v_add_f32_e32 v26, v23, v7
	v_add_f32_e32 v34, v6, v8
	v_sub_f32_e32 v8, v8, v24
	v_fmac_f32_e32 v4, 0xbf5db3d7, v11
	v_dual_fmac_f32 v6, -0.5, v25 :: v_dual_sub_f32 v25, v7, v23
	v_add_f32_e32 v7, v5, v7
	v_fmac_f32_e32 v5, -0.5, v26
	v_add_f32_e32 v38, v24, v34
	s_or_b32 s12, s14, vcc_lo
	s_delay_alu instid0(VALU_DEP_3) | instskip(NEXT) | instid1(VALU_DEP_3)
	v_dual_fmamk_f32 v11, v25, 0x3f5db3d7, v6 :: v_dual_add_f32 v36, v23, v7
	v_dual_fmac_f32 v6, 0xbf5db3d7, v25 :: v_dual_fmamk_f32 v7, v8, 0xbf5db3d7, v5
	v_fmac_f32_e32 v5, 0x3f5db3d7, v8
	s_delay_alu instid0(VALU_DEP_2) | instskip(NEXT) | instid1(VALU_DEP_3)
	v_dual_mul_f32 v8, 0xbf5db3d7, v11 :: v_dual_mul_f32 v37, 0xbf5db3d7, v6
	v_dual_mul_f32 v39, 0x3f5db3d7, v7 :: v_dual_mul_f32 v40, -0.5, v6
	s_delay_alu instid0(VALU_DEP_2) | instskip(NEXT) | instid1(VALU_DEP_3)
	v_fmac_f32_e32 v8, 0.5, v7
	v_dual_add_f32 v6, v32, v36 :: v_dual_fmac_f32 v37, -0.5, v5
	s_delay_alu instid0(VALU_DEP_3) | instskip(NEXT) | instid1(VALU_DEP_3)
	v_dual_fmac_f32 v39, 0.5, v11 :: v_dual_fmac_f32 v40, 0x3f5db3d7, v5
	v_add_f32_e32 v23, v33, v8
	v_dual_add_f32 v7, v12, v38 :: v_dual_sub_f32 v34, v33, v8
	s_delay_alu instid0(VALU_DEP_3)
	v_dual_sub_f32 v33, v12, v38 :: v_dual_add_f32 v24, v35, v39
	s_waitcnt vmcnt(1)
	v_add_f32_e32 v5, v21, v19
	v_dual_sub_f32 v35, v35, v39 :: v_dual_add_f32 v8, v9, v21
	v_dual_add_f32 v25, v3, v37 :: v_dual_add_f32 v26, v4, v40
	v_sub_f32_e32 v4, v4, v40
	s_delay_alu instid0(VALU_DEP_3) | instskip(SKIP_1) | instid1(VALU_DEP_2)
	v_dual_add_f32 v11, v22, v20 :: v_dual_add_f32 v8, v8, v19
	v_dual_fmac_f32 v9, -0.5, v5 :: v_dual_add_f32 v12, v10, v22
	v_dual_sub_f32 v5, v22, v20 :: v_dual_fmac_f32 v10, -0.5, v11
	v_dual_sub_f32 v11, v21, v19 :: v_dual_sub_f32 v32, v32, v36
	v_sub_f32_e32 v3, v3, v37
	s_delay_alu instid0(VALU_DEP_3) | instskip(SKIP_1) | instid1(VALU_DEP_4)
	v_fmamk_f32 v19, v5, 0xbf5db3d7, v9
	v_dual_add_f32 v21, v12, v20 :: v_dual_add_f32 v20, v18, v14
	v_dual_fmac_f32 v9, 0x3f5db3d7, v5 :: v_dual_fmamk_f32 v22, v11, 0x3f5db3d7, v10
	s_waitcnt vmcnt(0)
	v_dual_add_f32 v5, v18, v16 :: v_dual_add_f32 v12, v17, v15
	v_fmac_f32_e32 v10, 0xbf5db3d7, v11
	v_mul_lo_u16 v40, v31, 43
	s_delay_alu instid0(VALU_DEP_3) | instskip(SKIP_2) | instid1(VALU_DEP_3)
	v_dual_fmac_f32 v14, -0.5, v5 :: v_dual_sub_f32 v5, v17, v15
	v_add_f32_e32 v17, v17, v13
	v_fmac_f32_e32 v13, -0.5, v12
	v_dual_sub_f32 v12, v18, v16 :: v_dual_fmamk_f32 v11, v5, 0x3f5db3d7, v14
	v_fmac_f32_e32 v14, 0xbf5db3d7, v5
	s_delay_alu instid0(VALU_DEP_2) | instskip(NEXT) | instid1(VALU_DEP_2)
	v_dual_mul_f32 v18, 0xbf5db3d7, v11 :: v_dual_add_f32 v5, v15, v17
	v_dual_mul_f32 v36, 0xbf5db3d7, v14 :: v_dual_fmamk_f32 v15, v12, 0xbf5db3d7, v13
	v_fmac_f32_e32 v13, 0x3f5db3d7, v12
	s_delay_alu instid0(VALU_DEP_3) | instskip(SKIP_2) | instid1(VALU_DEP_4)
	v_dual_mul_f32 v39, -0.5, v14 :: v_dual_add_f32 v12, v8, v5
	v_sub_f32_e32 v8, v8, v5
	v_mul_u32_u24_e32 v5, 0x2a0, v31
	v_fmac_f32_e32 v36, -0.5, v13
	v_mul_f32_e32 v38, 0x3f5db3d7, v15
	v_dual_fmac_f32 v18, 0.5, v15 :: v_dual_fmac_f32 v39, 0x3f5db3d7, v13
	s_delay_alu instid0(VALU_DEP_2) | instskip(NEXT) | instid1(VALU_DEP_2)
	v_dual_add_f32 v37, v16, v20 :: v_dual_fmac_f32 v38, 0.5, v11
	v_dual_add_f32 v14, v19, v18 :: v_dual_add_f32 v17, v10, v39
	v_lshlrev_b32_e32 v11, 3, v28
	s_delay_alu instid0(VALU_DEP_3) | instskip(SKIP_2) | instid1(VALU_DEP_4)
	v_dual_add_f32 v16, v9, v36 :: v_dual_add_f32 v15, v22, v38
	v_sub_f32_e32 v20, v9, v36
	v_lshrrev_b16 v36, 8, v40
	v_add3_u32 v5, 0, v5, v11
	v_dual_add_f32 v13, v21, v37 :: v_dual_sub_f32 v18, v19, v18
	v_sub_f32_e32 v9, v21, v37
	v_sub_f32_e32 v19, v22, v38
	v_and_b32_e32 v22, 0xff, v30
	ds_store_2addr_b64 v5, v[6:7], v[23:24] offset1:14
	v_mul_lo_u16 v6, v36, 6
	ds_store_2addr_b64 v5, v[34:35], v[3:4] offset0:56 offset1:70
	v_mul_i32_i24_e32 v7, 0x2a0, v30
	ds_store_2addr_b64 v5, v[25:26], v[32:33] offset0:28 offset1:42
	v_sub_nc_u16 v6, v31, v6
	v_sub_f32_e32 v21, v10, v39
	v_mul_lo_u16 v10, 0xab, v22
	v_add3_u32 v26, 0, v7, v11
	s_delay_alu instid0(VALU_DEP_4) | instskip(NEXT) | instid1(VALU_DEP_3)
	v_and_b32_e32 v34, 0xff, v6
	v_lshrrev_b16 v32, 10, v10
	ds_store_2addr_b64 v26, v[12:13], v[14:15] offset1:14
	ds_store_2addr_b64 v26, v[16:17], v[8:9] offset0:28 offset1:42
	v_mul_u32_u24_e32 v4, 3, v34
	ds_store_2addr_b64 v26, v[18:19], v[20:21] offset0:56 offset1:70
	s_waitcnt lgkmcnt(0)
	s_barrier
	buffer_gl0_inv
	v_lshlrev_b32_e32 v4, 3, v4
	v_mul_lo_u16 v3, v32, 6
	v_lshrrev_b16 v61, 12, v10
	global_load_b128 v[12:15], v4, s[10:11]
	v_and_b32_e32 v22, 0xff, v27
	v_sub_nc_u16 v3, v30, v3
	global_load_b64 v[24:25], v4, s[10:11] offset:16
	v_mul_lo_u16 v33, 0xab, v22
	v_and_b32_e32 v56, 0xff, v3
	s_delay_alu instid0(VALU_DEP_2) | instskip(SKIP_1) | instid1(VALU_DEP_2)
	v_lshrrev_b16 v35, 10, v33
	v_lshrrev_b16 v62, 12, v33
	v_mul_lo_u16 v6, v35, 6
	s_delay_alu instid0(VALU_DEP_2) | instskip(NEXT) | instid1(VALU_DEP_2)
	v_mul_lo_u16 v37, v62, 24
	v_sub_nc_u16 v3, v27, v6
	v_mul_u32_u24_e32 v6, 3, v56
	s_delay_alu instid0(VALU_DEP_2) | instskip(NEXT) | instid1(VALU_DEP_2)
	v_and_b32_e32 v57, 0xff, v3
	v_lshlrev_b32_e32 v3, 3, v6
	v_mul_lo_u16 v6, v31, 11
	global_load_b128 v[16:19], v3, s[10:11]
	v_mul_u32_u24_e32 v4, 3, v57
	v_and_b32_e32 v8, 0xff, v29
	v_lshrrev_b16 v60, 8, v6
	s_delay_alu instid0(VALU_DEP_3)
	v_lshlrev_b32_e32 v4, 3, v4
	s_clause 0x2
	global_load_b64 v[48:49], v3, s[10:11] offset:16
	global_load_b128 v[20:23], v4, s[10:11]
	global_load_b64 v[50:51], v4, s[10:11] offset:16
	v_mul_i32_i24_e32 v4, 0x70, v27
	v_mul_i32_i24_e32 v3, 0x70, v29
	v_mul_lo_u16 v6, 0xab, v8
	v_mad_i32_i24 v8, 0xfffffdd0, v30, v26
	v_and_b32_e32 v26, 0xffff, v36
	v_mul_lo_u16 v36, v60, 24
	v_add3_u32 v7, 0, v4, v11
	v_mad_i32_i24 v4, 0xfffffdd0, v31, v5
	v_add3_u32 v3, 0, v3, v11
	v_lshrrev_b16 v63, 12, v6
	v_and_b32_e32 v32, 0xffff, v32
	v_and_b32_e32 v33, 0xffff, v35
	v_sub_nc_u16 v35, v31, v36
	v_mul_lo_u16 v36, v61, 24
	ds_load_b64 v[52:53], v4
	ds_load_b64 v[54:55], v3
	v_add_nc_u32_e32 v9, 0x2f40, v4
	v_mul_u32_u24_e32 v26, 24, v26
	v_mul_lo_u16 v38, v63, 24
	v_mul_u32_u24_e32 v58, 24, v32
	v_mul_u32_u24_e32 v59, 24, v33
	v_sub_nc_u16 v32, v30, v36
	v_sub_nc_u16 v33, v27, v37
	v_add_nc_u32_e32 v5, 0x3f00, v4
	v_add_nc_u32_e32 v6, 0x1f80, v4
	;; [unrolled: 1-line block ×3, first 2 shown]
	v_and_b32_e32 v64, 0xff, v35
	v_sub_nc_u16 v65, v29, v38
	v_or_b32_e32 v26, v26, v34
	v_and_b32_e32 v67, 0xff, v32
	v_and_b32_e32 v68, 0xff, v33
	ds_load_2addr_b64 v[32:35], v9 offset1:252
	ds_load_2addr_b64 v[36:39], v5 offset1:252
	;; [unrolled: 1-line block ×4, first 2 shown]
	v_and_b32_e32 v2, 0xffff, v63
	v_mul_u32_u24_e32 v26, 0x70, v26
	s_waitcnt vmcnt(5) lgkmcnt(3)
	v_dual_mul_f32 v72, v13, v55 :: v_dual_mul_f32 v73, v15, v33
	v_mul_f32_e32 v15, v15, v32
	v_or_b32_e32 v69, v58, v56
	v_mul_f32_e32 v13, v13, v54
	s_delay_alu instid0(VALU_DEP_4)
	v_fmac_f32_e32 v72, v12, v54
	v_or_b32_e32 v70, v59, v57
	ds_load_b64 v[56:57], v8
	ds_load_b64 v[58:59], v7
	s_waitcnt vmcnt(4) lgkmcnt(4)
	v_mul_f32_e32 v74, v25, v39
	v_mul_f32_e32 v25, v25, v38
	v_fma_f32 v12, v12, v55, -v13
	v_fmac_f32_e32 v73, v14, v32
	v_fma_f32 v13, v14, v33, -v15
	v_fmac_f32_e32 v74, v24, v38
	v_fma_f32 v14, v24, v39, -v25
	v_mul_u32_u24_e32 v69, 0x70, v69
	v_mul_u32_u24_e32 v70, 0x70, v70
	v_add3_u32 v26, 0, v26, v11
	s_waitcnt vmcnt(0) lgkmcnt(0)
	v_sub_f32_e32 v14, v12, v14
	v_add3_u32 v69, 0, v69, v11
	v_add3_u32 v70, 0, v70, v11
	s_barrier
	buffer_gl0_inv
	v_mul_f32_e32 v24, v17, v41
	v_mul_f32_e32 v15, v17, v40
	v_dual_mul_f32 v17, v35, v19 :: v_dual_lshlrev_b32 v66, 4, v64
	s_delay_alu instid0(VALU_DEP_3) | instskip(NEXT) | instid1(VALU_DEP_3)
	v_dual_mul_f32 v19, v34, v19 :: v_dual_fmac_f32 v24, v16, v40
	v_fma_f32 v40, v16, v41, -v15
	v_mul_f32_e32 v32, v44, v49
	v_mul_f32_e32 v38, v37, v23
	v_lshlrev_b32_e32 v71, 4, v67
	v_mul_f32_e32 v25, v45, v49
	v_mul_f32_e32 v33, v43, v21
	;; [unrolled: 1-line block ×4, first 2 shown]
	v_dual_mul_f32 v39, v47, v51 :: v_dual_fmac_f32 v38, v36, v22
	v_mul_f32_e32 v49, v46, v51
	v_fma_f32 v16, v45, v48, -v32
	v_fma_f32 v15, v35, v18, -v19
	s_delay_alu instid0(VALU_DEP_4) | instskip(SKIP_1) | instid1(VALU_DEP_4)
	v_dual_sub_f32 v19, v52, v73 :: v_dual_sub_f32 v38, v58, v38
	v_fmac_f32_e32 v25, v44, v48
	v_sub_f32_e32 v41, v40, v16
	v_fmac_f32_e32 v17, v34, v18
	v_fmac_f32_e32 v33, v42, v20
	v_fma_f32 v20, v43, v20, -v21
	v_fma_f32 v18, v37, v22, -v23
	v_sub_f32_e32 v21, v53, v13
	v_sub_f32_e32 v13, v72, v74
	v_fma_f32 v22, v47, v50, -v49
	v_fma_f32 v35, v12, 2.0, -v14
	v_add_f32_e32 v12, v19, v14
	v_sub_f32_e32 v36, v56, v17
	v_fma_f32 v34, v72, 2.0, -v13
	v_dual_sub_f32 v42, v59, v18 :: v_dual_sub_f32 v13, v21, v13
	v_sub_f32_e32 v22, v20, v22
	v_sub_f32_e32 v25, v24, v25
	v_fma_f32 v43, v56, 2.0, -v36
	v_fma_f32 v23, v52, 2.0, -v19
	v_sub_f32_e32 v37, v57, v15
	v_fma_f32 v45, v20, 2.0, -v22
	v_add_f32_e32 v20, v38, v22
	v_fma_f32 v24, v24, 2.0, -v25
	v_sub_f32_e32 v14, v23, v34
	v_fmac_f32_e32 v39, v46, v50
	v_fma_f32 v32, v53, 2.0, -v21
	v_fma_f32 v44, v57, 2.0, -v37
	v_sub_f32_e32 v24, v43, v24
	v_fma_f32 v34, v40, 2.0, -v41
	v_sub_f32_e32 v39, v33, v39
	v_sub_f32_e32 v15, v32, v35
	v_add_f32_e32 v18, v36, v41
	v_fma_f32 v40, v58, 2.0, -v38
	v_fma_f32 v41, v59, 2.0, -v42
	;; [unrolled: 1-line block ×4, first 2 shown]
	v_sub_f32_e32 v19, v37, v25
	v_sub_f32_e32 v25, v44, v34
	v_fma_f32 v17, v21, 2.0, -v13
	v_sub_f32_e32 v21, v42, v39
	v_dual_sub_f32 v34, v40, v35 :: v_dual_sub_f32 v35, v41, v45
	v_fma_f32 v22, v23, 2.0, -v14
	v_fma_f32 v23, v32, 2.0, -v15
	;; [unrolled: 1-line block ×10, first 2 shown]
	ds_store_2addr_b64 v26, v[14:15], v[12:13] offset0:168 offset1:252
	ds_store_2addr_b64 v26, v[22:23], v[16:17] offset1:84
	ds_store_2addr_b64 v69, v[24:25], v[18:19] offset0:168 offset1:252
	ds_store_2addr_b64 v69, v[38:39], v[32:33] offset1:84
	ds_store_2addr_b64 v70, v[40:41], v[36:37] offset1:84
	ds_store_2addr_b64 v70, v[34:35], v[20:21] offset0:168 offset1:252
	v_and_b32_e32 v24, 0xff, v65
	v_lshlrev_b32_e32 v20, 4, v68
	s_waitcnt lgkmcnt(0)
	s_barrier
	buffer_gl0_inv
	v_lshlrev_b32_e32 v25, 4, v24
	s_clause 0x3
	global_load_b128 v[12:15], v66, s[10:11] offset:144
	global_load_b128 v[16:19], v71, s[10:11] offset:144
	;; [unrolled: 1-line block ×4, first 2 shown]
	ds_load_2addr_b64 v[48:51], v10 offset1:252
	v_and_b32_e32 v25, 0xffff, v60
	v_and_b32_e32 v36, 0xffff, v62
	;; [unrolled: 1-line block ×3, first 2 shown]
	ds_load_2addr_b64 v[40:43], v5 offset1:252
	v_mad_u32_u24 v2, 0x48, v2, v24
	v_mad_u32_u24 v44, 0x48, v36, v68
	ds_load_2addr_b64 v[36:39], v6 offset1:252
	v_mad_u32_u24 v26, 0x48, v26, v67
	v_mul_u32_u24_e32 v2, 0x70, v2
	s_delay_alu instid0(VALU_DEP_2) | instskip(NEXT) | instid1(VALU_DEP_2)
	v_mul_u32_u24_e32 v24, 0x70, v26
	v_add3_u32 v2, 0, v2, v11
	s_delay_alu instid0(VALU_DEP_2)
	v_add3_u32 v58, 0, v24, v11
	s_waitcnt vmcnt(3) lgkmcnt(1)
	v_mul_f32_e32 v60, v15, v41
	s_waitcnt vmcnt(2)
	v_mul_f32_e32 v62, v19, v43
	s_waitcnt vmcnt(0)
	v_mul_f32_e32 v66, v51, v35
	v_mad_u32_u24 v25, 0x48, v25, v64
	s_waitcnt lgkmcnt(0)
	v_mul_f32_e32 v61, v17, v39
	v_dual_mul_f32 v64, v49, v23 :: v_dual_mul_f32 v15, v15, v40
	v_fmac_f32_e32 v60, v14, v40
	v_mul_u32_u24_e32 v25, 0x70, v25
	v_fmac_f32_e32 v62, v18, v42
	s_delay_alu instid0(VALU_DEP_4)
	v_fmac_f32_e32 v64, v48, v22
	v_fmac_f32_e32 v66, v50, v34
	;; [unrolled: 1-line block ×3, first 2 shown]
	v_add3_u32 v26, 0, v25, v11
	v_mul_u32_u24_e32 v25, 0x70, v44
	ds_load_2addr_b64 v[44:47], v9 offset1:252
	v_add3_u32 v59, 0, v25, v11
	ds_load_b64 v[24:25], v4
	ds_load_b64 v[52:53], v7
	;; [unrolled: 1-line block ×4, first 2 shown]
	v_mul_f32_e32 v11, v13, v37
	v_mul_f32_e32 v13, v13, v36
	;; [unrolled: 1-line block ×3, first 2 shown]
	s_waitcnt lgkmcnt(0)
	s_barrier
	v_fmac_f32_e32 v11, v12, v36
	v_mul_f32_e32 v17, v17, v38
	v_fma_f32 v12, v12, v37, -v13
	v_fma_f32 v13, v14, v41, -v15
	v_mul_f32_e32 v19, v19, v42
	buffer_gl0_inv
	v_fma_f32 v14, v16, v39, -v17
	v_fma_f32 v17, v49, v22, -v23
	v_sub_f32_e32 v22, v12, v13
	v_fma_f32 v15, v18, v43, -v19
	v_mul_f32_e32 v63, v21, v45
	v_mul_f32_e32 v21, v21, v44
	;; [unrolled: 1-line block ×3, first 2 shown]
	s_delay_alu instid0(VALU_DEP_4) | instskip(NEXT) | instid1(VALU_DEP_4)
	v_dual_add_f32 v23, v25, v12 :: v_dual_sub_f32 v36, v14, v15
	v_fmac_f32_e32 v63, v20, v44
	v_mul_f32_e32 v33, v46, v33
	v_add_f32_e32 v38, v14, v15
	s_delay_alu instid0(VALU_DEP_3) | instskip(NEXT) | instid1(VALU_DEP_3)
	v_dual_fmac_f32 v65, v46, v32 :: v_dual_add_f32 v40, v52, v63
	v_fma_f32 v18, v47, v32, -v33
	v_add_f32_e32 v32, v12, v13
	v_fma_f32 v16, v20, v45, -v21
	v_mul_f32_e32 v35, v50, v35
	s_delay_alu instid0(VALU_DEP_2) | instskip(NEXT) | instid1(VALU_DEP_2)
	v_dual_fmac_f32 v25, -0.5, v32 :: v_dual_sub_f32 v42, v16, v17
	v_fma_f32 v19, v51, v34, -v35
	v_add_f32_e32 v44, v16, v17
	v_dual_add_f32 v46, v56, v65 :: v_dual_sub_f32 v51, v65, v66
	s_delay_alu instid0(VALU_DEP_3) | instskip(SKIP_3) | instid1(VALU_DEP_4)
	v_dual_sub_f32 v48, v18, v19 :: v_dual_add_f32 v47, v65, v66
	v_dual_add_f32 v21, v11, v60 :: v_dual_add_f32 v50, v18, v19
	v_add_f32_e32 v34, v54, v61
	v_add_f32_e32 v20, v24, v11
	v_fma_f32 v56, -0.5, v47, v56
	v_add_f32_e32 v49, v57, v18
	v_add_f32_e32 v37, v55, v14
	v_fmac_f32_e32 v55, -0.5, v38
	v_add_f32_e32 v43, v53, v16
	v_add_f32_e32 v35, v61, v62
	v_fma_f32 v24, -0.5, v21, v24
	v_fmac_f32_e32 v53, -0.5, v44
	s_delay_alu instid0(VALU_DEP_4)
	v_dual_fmac_f32 v57, -0.5, v50 :: v_dual_add_f32 v16, v43, v17
	v_add_f32_e32 v12, v23, v13
	v_add_f32_e32 v41, v63, v64
	v_dual_add_f32 v13, v34, v62 :: v_dual_fmamk_f32 v34, v48, 0xbf5db3d7, v56
	v_fmac_f32_e32 v56, 0x3f5db3d7, v48
	v_dual_add_f32 v18, v49, v19 :: v_dual_sub_f32 v33, v11, v60
	v_add_f32_e32 v14, v37, v15
	v_fma_f32 v54, -0.5, v35, v54
	v_fmamk_f32 v19, v22, 0xbf5db3d7, v24
	v_fmac_f32_e32 v24, 0x3f5db3d7, v22
	v_fma_f32 v52, -0.5, v41, v52
	v_sub_f32_e32 v39, v61, v62
	v_sub_f32_e32 v45, v63, v64
	v_dual_add_f32 v11, v20, v60 :: v_dual_fmamk_f32 v20, v33, 0x3f5db3d7, v25
	v_fmac_f32_e32 v25, 0xbf5db3d7, v33
	v_fmamk_f32 v21, v36, 0xbf5db3d7, v54
	v_fmamk_f32 v32, v42, 0xbf5db3d7, v52
	v_fmac_f32_e32 v52, 0x3f5db3d7, v42
	v_dual_fmamk_f32 v22, v39, 0x3f5db3d7, v55 :: v_dual_add_f32 v15, v40, v64
	v_dual_add_f32 v17, v46, v66 :: v_dual_fmac_f32 v54, 0x3f5db3d7, v36
	v_fmac_f32_e32 v55, 0xbf5db3d7, v39
	v_fmamk_f32 v33, v45, 0x3f5db3d7, v53
	v_fmac_f32_e32 v53, 0xbf5db3d7, v45
	v_fmamk_f32 v35, v51, 0x3f5db3d7, v57
	v_fmac_f32_e32 v57, 0xbf5db3d7, v51
	ds_store_b64 v26, v[11:12]
	ds_store_b64 v26, v[19:20] offset:2688
	ds_store_b64 v26, v[24:25] offset:5376
	ds_store_b64 v58, v[13:14]
	ds_store_b64 v58, v[21:22] offset:2688
	ds_store_b64 v58, v[54:55] offset:5376
	;; [unrolled: 3-line block ×4, first 2 shown]
	s_waitcnt lgkmcnt(0)
	s_barrier
	buffer_gl0_inv
	s_and_saveexec_b32 s13, s12
	s_cbranch_execz .LBB0_12
; %bb.11:
	v_subrev_nc_u32_e32 v2, 18, v31
	v_cmp_gt_u32_e32 vcc_lo, 0xfc, v0
	v_subrev_nc_u32_e32 v11, 36, v31
	v_subrev_nc_u32_e32 v20, 54, v31
	s_load_b64 s[0:1], s[0:1], 0x8
	v_cndmask_b32_e32 v2, v2, v29, vcc_lo
	v_cmp_gt_u32_e32 vcc_lo, 0x1f8, v0
	v_dual_cndmask_b32 v19, v11, v27 :: v_dual_mov_b32 v24, 0
	s_delay_alu instid0(VALU_DEP_3) | instskip(SKIP_1) | instid1(VALU_DEP_2)
	v_lshlrev_b32_e32 v23, 1, v2
	v_mul_lo_u32 v21, v1, v2
	v_lshlrev_b64 v[11:12], 3, v[23:24]
	s_delay_alu instid0(VALU_DEP_4) | instskip(NEXT) | instid1(VALU_DEP_1)
	v_lshlrev_b32_e32 v23, 1, v19
	v_lshlrev_b64 v[15:16], 3, v[23:24]
	s_delay_alu instid0(VALU_DEP_3) | instskip(NEXT) | instid1(VALU_DEP_4)
	v_add_co_u32 v11, vcc_lo, s10, v11
	v_add_co_ci_u32_e32 v12, vcc_lo, s11, v12, vcc_lo
	s_delay_alu instid0(VALU_DEP_3) | instskip(NEXT) | instid1(VALU_DEP_4)
	v_add_co_u32 v15, vcc_lo, s10, v15
	v_add_co_ci_u32_e32 v16, vcc_lo, s11, v16, vcc_lo
	v_cmp_gt_u32_e32 vcc_lo, 0x2f4, v0
	s_clause 0x1
	global_load_b128 v[11:14], v[11:12], off offset:528
	global_load_b128 v[15:18], v[15:16], off offset:528
	v_add_nc_u32_e32 v22, 0xffffffb8, v31
	v_cndmask_b32_e32 v20, v20, v30, vcc_lo
	v_cmp_gt_u32_e32 vcc_lo, 0x3f0, v0
	v_and_b32_e32 v23, 0xff, v21
	v_lshrrev_b32_e32 v21, 5, v21
	s_delay_alu instid0(VALU_DEP_4)
	v_mul_lo_u32 v25, v1, v20
	v_cndmask_b32_e32 v89, v22, v31, vcc_lo
	v_mul_lo_u32 v22, v1, v19
	v_lshlrev_b32_e32 v23, 3, v23
	v_and_b32_e32 v21, 0x7f8, v21
	s_waitcnt lgkmcnt(0)
	s_clause 0x1
	global_load_b64 v[39:40], v23, s[0:1]
	global_load_b64 v[41:42], v21, s[0:1] offset:2048
	v_and_b32_e32 v23, 0xff, v25
	v_and_b32_e32 v31, 0xff, v22
	v_lshrrev_b32_e32 v22, 5, v22
	v_lshrrev_b32_e32 v25, 5, v25
	s_delay_alu instid0(VALU_DEP_3) | instskip(NEXT) | instid1(VALU_DEP_3)
	v_lshlrev_b32_e32 v21, 3, v31
	v_and_b32_e32 v22, 0x7f8, v22
	v_mul_lo_u32 v26, v1, v89
	s_clause 0x1
	global_load_b64 v[43:44], v21, s[0:1]
	global_load_b64 v[45:46], v22, s[0:1] offset:2048
	v_lshlrev_b32_e32 v22, 3, v23
	v_and_b32_e32 v23, 0x7f8, v25
	v_and_b32_e32 v31, 0xff, v26
	v_lshrrev_b32_e32 v21, 5, v26
	v_add_nc_u32_e32 v26, 0x90, v89
	s_delay_alu instid0(VALU_DEP_3) | instskip(NEXT) | instid1(VALU_DEP_3)
	v_lshlrev_b32_e32 v25, 3, v31
	v_and_b32_e32 v21, 0x7f8, v21
	s_clause 0x3
	global_load_b64 v[47:48], v22, s[0:1]
	global_load_b64 v[49:50], v23, s[0:1] offset:2048
	global_load_b64 v[51:52], v25, s[0:1]
	global_load_b64 v[53:54], v21, s[0:1] offset:2048
	v_add_nc_u32_e32 v21, 0x90, v2
	v_add_nc_u32_e32 v2, 0x48, v2
	;; [unrolled: 1-line block ×5, first 2 shown]
	v_mul_lo_u32 v21, v1, v21
	v_mul_lo_u32 v2, v1, v2
	;; [unrolled: 1-line block ×5, first 2 shown]
	v_add_nc_u32_e32 v25, 0x48, v20
	v_add_nc_u32_e32 v31, 0x48, v89
	v_mul_lo_u32 v26, v1, v26
	v_and_b32_e32 v32, 0xff, v21
	v_lshrrev_b32_e32 v21, 5, v21
	v_mul_lo_u32 v25, v1, v25
	v_mul_lo_u32 v31, v1, v31
	s_delay_alu instid0(VALU_DEP_4)
	v_lshlrev_b32_e32 v23, 3, v32
	v_and_b32_e32 v32, 0xff, v2
	v_and_b32_e32 v21, 0x7f8, v21
	v_lshrrev_b32_e32 v2, 5, v2
	s_clause 0x1
	global_load_b64 v[55:56], v23, s[0:1]
	global_load_b64 v[57:58], v21, s[0:1] offset:2048
	v_lshlrev_b32_e32 v21, 3, v32
	v_and_b32_e32 v32, 0xff, v22
	v_and_b32_e32 v23, 0x7f8, v2
	v_lshrrev_b32_e32 v22, 5, v22
	s_clause 0x1
	global_load_b64 v[1:2], v21, s[0:1]
	global_load_b64 v[59:60], v23, s[0:1] offset:2048
	v_lshlrev_b32_e32 v21, 3, v32
	v_lshlrev_b32_e32 v23, 1, v20
	v_and_b32_e32 v20, 0xff, v19
	v_and_b32_e32 v22, 0x7f8, v22
	v_lshrrev_b32_e32 v19, 5, v19
	s_clause 0x1
	global_load_b64 v[61:62], v21, s[0:1]
	global_load_b64 v[63:64], v22, s[0:1] offset:2048
	v_and_b32_e32 v21, 0xff, v33
	v_lshlrev_b32_e32 v20, 3, v20
	v_lshrrev_b32_e32 v22, 5, v33
	v_and_b32_e32 v19, 0x7f8, v19
	v_and_b32_e32 v32, 0xff, v25
	v_lshrrev_b32_e32 v25, 5, v25
	s_clause 0x1
	global_load_b64 v[65:66], v20, s[0:1]
	global_load_b64 v[67:68], v19, s[0:1] offset:2048
	v_lshlrev_b32_e32 v19, 3, v21
	v_and_b32_e32 v20, 0x7f8, v22
	v_and_b32_e32 v21, 0xff, v31
	v_lshrrev_b32_e32 v22, 5, v31
	v_lshlrev_b32_e32 v31, 3, v32
	s_clause 0x1
	global_load_b64 v[69:70], v19, s[0:1]
	global_load_b64 v[71:72], v20, s[0:1] offset:2048
	v_and_b32_e32 v19, 0x7f8, v25
	s_clause 0x1
	global_load_b64 v[73:74], v31, s[0:1]
	global_load_b64 v[75:76], v19, s[0:1] offset:2048
	v_lshlrev_b64 v[19:20], 3, v[23:24]
	v_lshlrev_b32_e32 v23, 1, v89
	v_and_b32_e32 v33, 0xff, v26
	v_lshrrev_b32_e32 v26, 5, v26
	v_lshlrev_b32_e32 v21, 3, v21
	v_and_b32_e32 v22, 0x7f8, v22
	v_lshlrev_b64 v[23:24], 3, v[23:24]
	v_add_co_u32 v19, vcc_lo, s10, v19
	v_lshlrev_b32_e32 v25, 3, v33
	v_add_co_ci_u32_e32 v20, vcc_lo, s11, v20, vcc_lo
	v_and_b32_e32 v26, 0x7f8, v26
	v_add_co_u32 v23, vcc_lo, s10, v23
	s_clause 0x3
	global_load_b64 v[77:78], v25, s[0:1]
	global_load_b64 v[79:80], v26, s[0:1] offset:2048
	global_load_b64 v[81:82], v21, s[0:1]
	global_load_b64 v[83:84], v22, s[0:1] offset:2048
	global_load_b128 v[19:22], v[19:20], off offset:528
	v_add_co_ci_u32_e32 v24, vcc_lo, s11, v24, vcc_lo
	v_cmp_lt_u32_e32 vcc_lo, 0x3ef, v0
	s_lshl_b64 s[0:1], s[6:7], 3
	global_load_b128 v[23:26], v[23:24], off offset:528
	ds_load_2addr_b64 v[31:34], v9 offset1:252
	ds_load_2addr_b64 v[35:38], v10 offset1:252
	ds_load_b64 v[85:86], v7
	ds_load_b64 v[87:88], v8
	s_add_u32 s0, s8, s0
	s_addc_u32 s1, s9, s1
	s_waitcnt vmcnt(27) lgkmcnt(3)
	v_mul_f32_e32 v9, v33, v12
	s_waitcnt lgkmcnt(2)
	v_mul_f32_e32 v10, v37, v14
	v_mul_f32_e32 v90, v34, v12
	;; [unrolled: 1-line block ×3, first 2 shown]
	s_waitcnt vmcnt(26)
	v_mul_f32_e32 v7, v16, v31
	v_fma_f32 v92, v34, v11, -v9
	v_fma_f32 v93, v38, v13, -v10
	v_fmac_f32_e32 v90, v33, v11
	v_fmac_f32_e32 v91, v37, v13
	v_fma_f32 v96, v15, v32, -v7
	ds_load_2addr_b64 v[6:9], v6 offset1:252
	ds_load_2addr_b64 v[10:13], v5 offset1:252
	v_mul_f32_e32 v14, v35, v18
	v_mul_f32_e32 v95, v36, v18
	;; [unrolled: 1-line block ×3, first 2 shown]
	v_cndmask_b32_e64 v5, 0, 0xd8, vcc_lo
	v_cmp_lt_u32_e32 vcc_lo, 0x2f3, v0
	v_fma_f32 v97, v36, v17, -v14
	v_fmac_f32_e32 v95, v35, v17
	v_mad_u64_u32 v[16:17], null, s4, v28, 0
	s_waitcnt vmcnt(24)
	v_mul_f32_e32 v18, v40, v42
	v_mul_f32_e32 v42, v39, v42
	v_fmac_f32_e32 v94, v15, v31
	v_cndmask_b32_e64 v98, 0, 0x90, vcc_lo
	v_cmp_lt_u32_e32 vcc_lo, 0x1f7, v0
	v_fma_f32 v99, v39, v41, -v18
	v_add_nc_u32_e32 v39, v89, v5
	v_dual_mov_b32 v5, v17 :: v_dual_fmac_f32 v42, v40, v41
	s_waitcnt vmcnt(22)
	v_mul_f32_e32 v18, v44, v46
	v_mul_f32_e32 v41, v43, v46
	ds_load_b64 v[14:15], v3
	ds_load_b64 v[3:4], v4
	v_cndmask_b32_e64 v46, 0, 0x90, vcc_lo
	v_fma_f32 v43, v43, v45, -v18
	s_waitcnt lgkmcnt(3)
	v_mad_u64_u32 v[17:18], null, s5, v28, v[5:6]
	v_dual_fmac_f32 v41, v44, v45 :: v_dual_add_nc_u32 v18, 0x48, v39
	s_waitcnt vmcnt(20)
	v_mul_f32_e32 v31, v48, v50
	v_mul_f32_e32 v44, v47, v50
	s_waitcnt vmcnt(18)
	v_mul_f32_e32 v5, v52, v54
	v_mad_u64_u32 v[33:34], null, s2, v18, 0
	v_fma_f32 v45, v47, v49, -v31
	v_mad_u64_u32 v[31:32], null, s2, v39, 0
	v_dual_fmac_f32 v44, v48, v49 :: v_dual_add_nc_u32 v47, 0x90, v39
	v_fma_f32 v48, v51, v53, -v5
	v_lshlrev_b64 v[16:17], 3, v[16:17]
	v_mul_f32_e32 v28, v51, v54
	s_delay_alu instid0(VALU_DEP_4) | instskip(SKIP_1) | instid1(VALU_DEP_3)
	v_mad_u64_u32 v[35:36], null, s2, v47, 0
	v_mov_b32_e32 v5, v32
	v_fmac_f32_e32 v28, v52, v53
	s_delay_alu instid0(VALU_DEP_2) | instskip(SKIP_1) | instid1(VALU_DEP_1)
	v_mad_u64_u32 v[37:38], null, s3, v39, v[5:6]
	v_mov_b32_e32 v5, v34
	v_mad_u64_u32 v[38:39], null, s3, v18, v[5:6]
	s_delay_alu instid0(VALU_DEP_3) | instskip(SKIP_2) | instid1(VALU_DEP_2)
	v_dual_mov_b32 v5, v36 :: v_dual_mov_b32 v32, v37
	s_waitcnt vmcnt(16)
	v_mul_f32_e32 v18, v56, v58
	v_mad_u64_u32 v[36:37], null, s3, v47, v[5:6]
	v_mul_f32_e32 v37, v55, v58
	v_add_nc_u32_e32 v30, v30, v98
	v_add_co_u32 v47, vcc_lo, s0, v16
	v_add_co_ci_u32_e32 v49, vcc_lo, s1, v17, vcc_lo
	s_delay_alu instid0(VALU_DEP_4) | instskip(NEXT) | instid1(VALU_DEP_4)
	v_fmac_f32_e32 v37, v56, v57
	v_mad_u64_u32 v[39:40], null, s2, v30, 0
	v_add_nc_u32_e32 v50, 0x48, v30
	s_waitcnt vmcnt(12)
	v_dual_mov_b32 v34, v38 :: v_dual_mul_f32 v53, v61, v64
	v_dual_mul_f32 v51, v1, v60 :: v_dual_add_nc_u32 v38, 0x90, v30
	s_waitcnt vmcnt(10)
	s_delay_alu instid0(VALU_DEP_4) | instskip(SKIP_1) | instid1(VALU_DEP_3)
	v_dual_mul_f32 v56, v65, v68 :: v_dual_mov_b32 v5, v40
	v_fma_f32 v40, v55, v57, -v18
	v_fmac_f32_e32 v51, v2, v59
	s_delay_alu instid0(VALU_DEP_3) | instskip(NEXT) | instid1(VALU_DEP_4)
	v_fmac_f32_e32 v56, v66, v67
	v_mad_u64_u32 v[16:17], null, s3, v30, v[5:6]
	v_mul_f32_e32 v5, v2, v60
	v_mad_u64_u32 v[17:18], null, s2, v50, 0
	v_lshlrev_b64 v[30:31], 3, v[31:32]
	v_lshlrev_b64 v[32:33], 3, v[33:34]
	s_delay_alu instid0(VALU_DEP_4)
	v_fma_f32 v52, v1, v59, -v5
	v_mul_f32_e32 v5, v62, v64
	v_sub_f32_e32 v64, v90, v91
	v_mul_f32_e32 v55, v66, v68
	v_lshlrev_b64 v[34:35], 3, v[35:36]
	s_waitcnt vmcnt(8)
	v_mul_f32_e32 v36, v70, v72
	v_fma_f32 v54, v61, v63, -v5
	v_mov_b32_e32 v5, v18
	v_fma_f32 v18, v65, v67, -v55
	v_dual_mul_f32 v55, v69, v72 :: v_dual_add_f32 v72, v94, v95
	v_fma_f32 v36, v69, v71, -v36
	v_add_f32_e32 v66, v90, v91
	s_waitcnt lgkmcnt(1)
	v_add_f32_e32 v68, v14, v90
	s_waitcnt vmcnt(6)
	v_dual_fmac_f32 v55, v70, v71 :: v_dual_mul_f32 v58, v73, v76
	s_waitcnt vmcnt(1)
	v_mul_f32_e32 v69, v20, v8
	v_mul_f32_e32 v70, v22, v12
	v_mul_f32_e32 v20, v20, v9
	v_mul_f32_e32 v22, v22, v13
	v_fmac_f32_e32 v53, v62, v63
	v_add_f32_e32 v63, v92, v93
	v_add_f32_e32 v67, v15, v92
	v_fma_f32 v14, -0.5, v66, v14
	v_add_f32_e32 v66, v68, v91
	v_fma_f32 v13, v21, v13, -v70
	v_fmac_f32_e32 v22, v21, v12
	s_waitcnt vmcnt(0)
	v_mul_f32_e32 v12, v24, v6
	v_mul_f32_e32 v21, v24, v7
	;; [unrolled: 1-line block ×3, first 2 shown]
	v_fma_f32 v15, -0.5, v63, v15
	v_dual_fmac_f32 v58, v74, v75 :: v_dual_sub_f32 v65, v92, v93
	v_sub_f32_e32 v68, v94, v95
	v_fmac_f32_e32 v20, v19, v8
	v_fmac_f32_e32 v24, v25, v10
	v_fma_f32 v9, v19, v9, -v69
	v_dual_mul_f32 v19, v26, v10 :: v_dual_fmamk_f32 v26, v64, 0xbf5db3d7, v15
	v_dual_fmac_f32 v15, 0x3f5db3d7, v64 :: v_dual_mul_f32 v64, v66, v42
	v_dual_mul_f32 v57, v74, v76 :: v_dual_add_f32 v74, v85, v94
	v_mul_f32_e32 v59, v78, v80
	v_fmamk_f32 v69, v65, 0x3f5db3d7, v14
	v_fmac_f32_e32 v14, 0xbf5db3d7, v65
	s_delay_alu instid0(VALU_DEP_4) | instskip(SKIP_4) | instid1(VALU_DEP_4)
	v_fma_f32 v57, v73, v75, -v57
	v_dual_add_f32 v70, v74, v95 :: v_dual_add_f32 v63, v67, v93
	v_add_f32_e32 v67, v96, v97
	v_dual_add_f32 v73, v86, v96 :: v_dual_add_f32 v76, v88, v9
	v_mul_f32_e32 v60, v77, v80
	v_mul_f32_e32 v8, v63, v42
	s_delay_alu instid0(VALU_DEP_4)
	v_fma_f32 v42, -0.5, v67, v86
	v_fma_f32 v65, -0.5, v72, v85
	v_add_f32_e32 v67, v73, v97
	v_add_f32_e32 v72, v9, v13
	v_fma_f32 v59, v77, v79, -v59
	v_fma_f32 v7, v23, v7, -v12
	v_fmac_f32_e32 v21, v23, v6
	v_add_f32_e32 v75, v20, v22
	v_fmamk_f32 v23, v68, 0xbf5db3d7, v42
	v_fmac_f32_e32 v42, 0x3f5db3d7, v68
	v_fma_f32 v77, v25, v11, -v19
	v_dual_sub_f32 v73, v20, v22 :: v_dual_add_f32 v20, v87, v20
	v_dual_mul_f32 v61, v82, v84 :: v_dual_sub_f32 v74, v9, v13
	v_mul_f32_e32 v6, v26, v37
	v_fmac_f32_e32 v8, v66, v99
	v_fma_f32 v9, v63, v99, -v64
	v_add_f32_e32 v64, v20, v22
	v_dual_sub_f32 v71, v96, v97 :: v_dual_mul_f32 v10, v15, v51
	v_dual_mul_f32 v19, v14, v51 :: v_dual_sub_f32 v68, v7, v77
	s_delay_alu instid0(VALU_DEP_2) | instskip(NEXT) | instid1(VALU_DEP_3)
	v_dual_mul_f32 v62, v81, v84 :: v_dual_fmamk_f32 v25, v71, 0x3f5db3d7, v65
	v_fmac_f32_e32 v10, v14, v52
	v_mul_f32_e32 v12, v67, v41
	v_mul_f32_e32 v11, v69, v37
	;; [unrolled: 1-line block ×3, first 2 shown]
	v_fma_f32 v41, -0.5, v72, v88
	v_dual_fmac_f32 v6, v69, v40 :: v_dual_fmac_f32 v65, 0xbf5db3d7, v71
	s_waitcnt lgkmcnt(0)
	v_add_f32_e32 v72, v3, v21
	v_add_f32_e32 v22, v21, v24
	;; [unrolled: 1-line block ×3, first 2 shown]
	v_sub_f32_e32 v66, v21, v24
	v_fma_f32 v51, -0.5, v75, v87
	v_add_f32_e32 v63, v76, v13
	v_dual_add_f32 v71, v4, v7 :: v_dual_mul_f32 v14, v23, v53
	v_fmac_f32_e32 v12, v70, v43
	v_fma_f32 v7, v26, v40, -v11
	v_fma_f32 v11, v15, v52, -v19
	v_mul_f32_e32 v26, v65, v56
	v_dual_mul_f32 v19, v42, v56 :: v_dual_fmac_f32 v14, v25, v54
	v_fma_f32 v52, -0.5, v22, v3
	v_add_f32_e32 v56, v72, v24
	v_fma_f32 v13, v67, v43, -v37
	v_dual_mul_f32 v43, v64, v44 :: v_dual_fmac_f32 v62, v82, v83
	v_dual_fmamk_f32 v40, v74, 0x3f5db3d7, v51 :: v_dual_mul_f32 v15, v25, v53
	v_add_f32_e32 v53, v71, v77
	s_delay_alu instid0(VALU_DEP_3)
	v_fma_f32 v22, v63, v45, -v43
	v_fmamk_f32 v43, v68, 0x3f5db3d7, v52
	v_fmac_f32_e32 v52, 0xbf5db3d7, v68
	v_mul_f32_e32 v21, v63, v44
	v_fma_f32 v44, -0.5, v20, v4
	v_fmac_f32_e32 v51, 0xbf5db3d7, v74
	v_fma_f32 v20, v42, v18, -v26
	v_dual_fmac_f32 v60, v78, v79 :: v_dual_fmac_f32 v19, v65, v18
	v_mul_f32_e32 v26, v56, v28
	v_dual_fmamk_f32 v42, v66, 0xbf5db3d7, v44 :: v_dual_fmamk_f32 v37, v73, 0xbf5db3d7, v41
	v_dual_mul_f32 v18, v51, v58 :: v_dual_fmac_f32 v41, 0x3f5db3d7, v73
	v_fmac_f32_e32 v44, 0x3f5db3d7, v66
	v_mul_f32_e32 v4, v40, v55
	s_delay_alu instid0(VALU_DEP_4)
	v_mul_f32_e32 v3, v37, v55
	v_mul_f32_e32 v25, v53, v28
	v_add_co_u32 v1, vcc_lo, v47, v30
	v_fma_f32 v61, v81, v83, -v61
	v_fma_f32 v4, v37, v36, -v4
	;; [unrolled: 1-line block ×3, first 2 shown]
	v_mul_f32_e32 v18, v43, v60
	v_fmac_f32_e32 v3, v40, v36
	v_mul_f32_e32 v28, v52, v62
	v_mul_f32_e32 v36, v44, v62
	v_add_co_ci_u32_e32 v2, vcc_lo, v49, v31, vcc_lo
	v_add_co_u32 v32, vcc_lo, v47, v32
	v_fma_f32 v26, v53, v48, -v26
	v_fmac_f32_e32 v25, v56, v48
	v_add_co_ci_u32_e32 v33, vcc_lo, v49, v33, vcc_lo
	v_fma_f32 v15, v23, v54, -v15
	v_dual_mul_f32 v23, v41, v58 :: v_dual_fmac_f32 v36, v52, v61
	v_fma_f32 v37, v44, v61, -v28
	v_dual_mul_f32 v41, v42, v60 :: v_dual_mov_b32 v40, v16
	v_mad_u64_u32 v[30:31], null, s2, v38, 0
	s_clause 0x1
	global_store_b64 v[1:2], v[25:26], off
	global_store_b64 v[32:33], v[36:37], off
	v_add_co_u32 v1, vcc_lo, v47, v34
	v_fma_f32 v42, v42, v59, -v18
	v_fmac_f32_e32 v41, v43, v59
	v_add_co_ci_u32_e32 v2, vcc_lo, v49, v35, vcc_lo
	v_add_nc_u32_e32 v33, v27, v46
	v_mad_u64_u32 v[25:26], null, s3, v50, v[5:6]
	v_mov_b32_e32 v5, v31
	global_store_b64 v[1:2], v[41:42], off
	v_lshlrev_b64 v[1:2], 3, v[39:40]
	v_mad_u64_u32 v[26:27], null, s2, v33, 0
	v_mad_u64_u32 v[31:32], null, s3, v38, v[5:6]
	v_mov_b32_e32 v18, v25
	s_delay_alu instid0(VALU_DEP_4)
	v_add_co_u32 v1, vcc_lo, v47, v1
	v_fmac_f32_e32 v21, v64, v45
	v_add_co_ci_u32_e32 v2, vcc_lo, v49, v2, vcc_lo
	v_mov_b32_e32 v5, v27
	v_lshlrev_b64 v[16:17], 3, v[17:18]
	v_add_nc_u32_e32 v18, 0x48, v33
	global_store_b64 v[1:2], v[21:22], off
	v_lshlrev_b64 v[1:2], 3, v[30:31]
	v_mad_u64_u32 v[27:28], null, s3, v33, v[5:6]
	v_add_co_u32 v16, vcc_lo, v47, v16
	v_fmac_f32_e32 v23, v51, v57
	v_add_co_ci_u32_e32 v17, vcc_lo, v49, v17, vcc_lo
	v_add_co_u32 v1, vcc_lo, v47, v1
	v_mad_u64_u32 v[21:22], null, s2, v18, 0
	v_add_co_ci_u32_e32 v2, vcc_lo, v49, v2, vcc_lo
	v_cmp_lt_u32_e32 vcc_lo, 0xfb, v0
	global_store_b64 v[16:17], v[23:24], off
	v_lshlrev_b64 v[16:17], 3, v[26:27]
	global_store_b64 v[1:2], v[3:4], off
	v_mov_b32_e32 v1, v22
	v_cndmask_b32_e64 v0, 0, 0x90, vcc_lo
	v_add_nc_u32_e32 v23, 0x90, v33
	v_add_co_u32 v2, vcc_lo, v47, v16
	v_add_co_ci_u32_e32 v3, vcc_lo, v49, v17, vcc_lo
	s_delay_alu instid0(VALU_DEP_4) | instskip(NEXT) | instid1(VALU_DEP_3)
	v_add_nc_u32_e32 v24, v29, v0
	v_mad_u64_u32 v[4:5], null, s3, v18, v[1:2]
	v_mad_u64_u32 v[0:1], null, s2, v23, 0
	global_store_b64 v[2:3], v[12:13], off
	v_mad_u64_u32 v[2:3], null, s2, v24, 0
	v_dual_mov_b32 v22, v4 :: v_dual_add_nc_u32 v25, 0x48, v24
	s_delay_alu instid0(VALU_DEP_1) | instskip(NEXT) | instid1(VALU_DEP_3)
	v_mad_u64_u32 v[4:5], null, s2, v25, 0
	v_mad_u64_u32 v[16:17], null, s3, v23, v[1:2]
	v_add_nc_u32_e32 v23, 0x90, v24
	s_delay_alu instid0(VALU_DEP_4) | instskip(NEXT) | instid1(VALU_DEP_4)
	v_lshlrev_b64 v[12:13], 3, v[21:22]
	v_mad_u64_u32 v[17:18], null, s3, v24, v[3:4]
	s_delay_alu instid0(VALU_DEP_3) | instskip(NEXT) | instid1(VALU_DEP_3)
	v_mad_u64_u32 v[21:22], null, s2, v23, 0
	v_add_co_u32 v12, vcc_lo, v47, v12
	s_delay_alu instid0(VALU_DEP_4)
	v_add_co_ci_u32_e32 v13, vcc_lo, v49, v13, vcc_lo
	v_mov_b32_e32 v1, v16
	v_mov_b32_e32 v3, v17
	v_mad_u64_u32 v[16:17], null, s3, v25, v[5:6]
	v_mov_b32_e32 v5, v22
	global_store_b64 v[12:13], v[19:20], off
	v_lshlrev_b64 v[0:1], 3, v[0:1]
	v_lshlrev_b64 v[2:3], 3, v[2:3]
	v_mad_u64_u32 v[12:13], null, s3, v23, v[5:6]
	v_mov_b32_e32 v5, v16
	s_delay_alu instid0(VALU_DEP_4) | instskip(SKIP_1) | instid1(VALU_DEP_3)
	v_add_co_u32 v0, vcc_lo, v47, v0
	v_add_co_ci_u32_e32 v1, vcc_lo, v49, v1, vcc_lo
	v_lshlrev_b64 v[4:5], 3, v[4:5]
	v_mov_b32_e32 v22, v12
	v_add_co_u32 v2, vcc_lo, v47, v2
	v_add_co_ci_u32_e32 v3, vcc_lo, v49, v3, vcc_lo
	s_delay_alu instid0(VALU_DEP_3) | instskip(SKIP_2) | instid1(VALU_DEP_3)
	v_lshlrev_b64 v[12:13], 3, v[21:22]
	v_add_co_u32 v4, vcc_lo, v47, v4
	v_add_co_ci_u32_e32 v5, vcc_lo, v49, v5, vcc_lo
	v_add_co_u32 v12, vcc_lo, v47, v12
	s_delay_alu instid0(VALU_DEP_4)
	v_add_co_ci_u32_e32 v13, vcc_lo, v49, v13, vcc_lo
	s_clause 0x3
	global_store_b64 v[0:1], v[14:15], off
	global_store_b64 v[2:3], v[8:9], off
	global_store_b64 v[4:5], v[10:11], off
	global_store_b64 v[12:13], v[6:7], off
.LBB0_12:
	s_nop 0
	s_sendmsg sendmsg(MSG_DEALLOC_VGPRS)
	s_endpgm
	.section	.rodata,"a",@progbits
	.p2align	6, 0x0
	.amdhsa_kernel fft_rtc_back_len216_factors_6_4_3_3_wgs_252_tpt_18_dim2_sp_ip_CI_sbcc_twdbase8_2step_dirReg
		.amdhsa_group_segment_fixed_size 0
		.amdhsa_private_segment_fixed_size 0
		.amdhsa_kernarg_size 88
		.amdhsa_user_sgpr_count 15
		.amdhsa_user_sgpr_dispatch_ptr 0
		.amdhsa_user_sgpr_queue_ptr 0
		.amdhsa_user_sgpr_kernarg_segment_ptr 1
		.amdhsa_user_sgpr_dispatch_id 0
		.amdhsa_user_sgpr_private_segment_size 0
		.amdhsa_wavefront_size32 1
		.amdhsa_uses_dynamic_stack 0
		.amdhsa_enable_private_segment 0
		.amdhsa_system_sgpr_workgroup_id_x 1
		.amdhsa_system_sgpr_workgroup_id_y 0
		.amdhsa_system_sgpr_workgroup_id_z 0
		.amdhsa_system_sgpr_workgroup_info 0
		.amdhsa_system_vgpr_workitem_id 0
		.amdhsa_next_free_vgpr 100
		.amdhsa_next_free_sgpr 23
		.amdhsa_reserve_vcc 1
		.amdhsa_float_round_mode_32 0
		.amdhsa_float_round_mode_16_64 0
		.amdhsa_float_denorm_mode_32 3
		.amdhsa_float_denorm_mode_16_64 3
		.amdhsa_dx10_clamp 1
		.amdhsa_ieee_mode 1
		.amdhsa_fp16_overflow 0
		.amdhsa_workgroup_processor_mode 1
		.amdhsa_memory_ordered 1
		.amdhsa_forward_progress 0
		.amdhsa_shared_vgpr_count 0
		.amdhsa_exception_fp_ieee_invalid_op 0
		.amdhsa_exception_fp_denorm_src 0
		.amdhsa_exception_fp_ieee_div_zero 0
		.amdhsa_exception_fp_ieee_overflow 0
		.amdhsa_exception_fp_ieee_underflow 0
		.amdhsa_exception_fp_ieee_inexact 0
		.amdhsa_exception_int_div_zero 0
	.end_amdhsa_kernel
	.text
.Lfunc_end0:
	.size	fft_rtc_back_len216_factors_6_4_3_3_wgs_252_tpt_18_dim2_sp_ip_CI_sbcc_twdbase8_2step_dirReg, .Lfunc_end0-fft_rtc_back_len216_factors_6_4_3_3_wgs_252_tpt_18_dim2_sp_ip_CI_sbcc_twdbase8_2step_dirReg
                                        ; -- End function
	.section	.AMDGPU.csdata,"",@progbits
; Kernel info:
; codeLenInByte = 8136
; NumSgprs: 25
; NumVgprs: 100
; ScratchSize: 0
; MemoryBound: 0
; FloatMode: 240
; IeeeMode: 1
; LDSByteSize: 0 bytes/workgroup (compile time only)
; SGPRBlocks: 3
; VGPRBlocks: 12
; NumSGPRsForWavesPerEU: 25
; NumVGPRsForWavesPerEU: 100
; Occupancy: 12
; WaveLimiterHint : 1
; COMPUTE_PGM_RSRC2:SCRATCH_EN: 0
; COMPUTE_PGM_RSRC2:USER_SGPR: 15
; COMPUTE_PGM_RSRC2:TRAP_HANDLER: 0
; COMPUTE_PGM_RSRC2:TGID_X_EN: 1
; COMPUTE_PGM_RSRC2:TGID_Y_EN: 0
; COMPUTE_PGM_RSRC2:TGID_Z_EN: 0
; COMPUTE_PGM_RSRC2:TIDIG_COMP_CNT: 0
	.text
	.p2alignl 7, 3214868480
	.fill 96, 4, 3214868480
	.type	__hip_cuid_2f573f064609fbb1,@object ; @__hip_cuid_2f573f064609fbb1
	.section	.bss,"aw",@nobits
	.globl	__hip_cuid_2f573f064609fbb1
__hip_cuid_2f573f064609fbb1:
	.byte	0                               ; 0x0
	.size	__hip_cuid_2f573f064609fbb1, 1

	.ident	"AMD clang version 19.0.0git (https://github.com/RadeonOpenCompute/llvm-project roc-6.4.0 25133 c7fe45cf4b819c5991fe208aaa96edf142730f1d)"
	.section	".note.GNU-stack","",@progbits
	.addrsig
	.addrsig_sym __hip_cuid_2f573f064609fbb1
	.amdgpu_metadata
---
amdhsa.kernels:
  - .args:
      - .actual_access:  read_only
        .address_space:  global
        .offset:         0
        .size:           8
        .value_kind:     global_buffer
      - .address_space:  global
        .offset:         8
        .size:           8
        .value_kind:     global_buffer
      - .actual_access:  read_only
        .address_space:  global
        .offset:         16
        .size:           8
        .value_kind:     global_buffer
      - .actual_access:  read_only
        .address_space:  global
        .offset:         24
        .size:           8
        .value_kind:     global_buffer
      - .offset:         32
        .size:           8
        .value_kind:     by_value
      - .actual_access:  read_only
        .address_space:  global
        .offset:         40
        .size:           8
        .value_kind:     global_buffer
      - .actual_access:  read_only
        .address_space:  global
        .offset:         48
        .size:           8
        .value_kind:     global_buffer
      - .offset:         56
        .size:           4
        .value_kind:     by_value
      - .actual_access:  read_only
        .address_space:  global
        .offset:         64
        .size:           8
        .value_kind:     global_buffer
      - .actual_access:  read_only
        .address_space:  global
        .offset:         72
        .size:           8
        .value_kind:     global_buffer
      - .address_space:  global
        .offset:         80
        .size:           8
        .value_kind:     global_buffer
    .group_segment_fixed_size: 0
    .kernarg_segment_align: 8
    .kernarg_segment_size: 88
    .language:       OpenCL C
    .language_version:
      - 2
      - 0
    .max_flat_workgroup_size: 252
    .name:           fft_rtc_back_len216_factors_6_4_3_3_wgs_252_tpt_18_dim2_sp_ip_CI_sbcc_twdbase8_2step_dirReg
    .private_segment_fixed_size: 0
    .sgpr_count:     25
    .sgpr_spill_count: 0
    .symbol:         fft_rtc_back_len216_factors_6_4_3_3_wgs_252_tpt_18_dim2_sp_ip_CI_sbcc_twdbase8_2step_dirReg.kd
    .uniform_work_group_size: 1
    .uses_dynamic_stack: false
    .vgpr_count:     100
    .vgpr_spill_count: 0
    .wavefront_size: 32
    .workgroup_processor_mode: 1
amdhsa.target:   amdgcn-amd-amdhsa--gfx1100
amdhsa.version:
  - 1
  - 2
...

	.end_amdgpu_metadata
